;; amdgpu-corpus repo=ROCm/rocFFT kind=compiled arch=gfx906 opt=O3
	.text
	.amdgcn_target "amdgcn-amd-amdhsa--gfx906"
	.amdhsa_code_object_version 6
	.protected	fft_rtc_back_len50_factors_2_5_5_wgs_60_tpt_10_halfLds_dim1_dp_op_CI_CI_unitstride_sbrr_C2R_dirReg ; -- Begin function fft_rtc_back_len50_factors_2_5_5_wgs_60_tpt_10_halfLds_dim1_dp_op_CI_CI_unitstride_sbrr_C2R_dirReg
	.globl	fft_rtc_back_len50_factors_2_5_5_wgs_60_tpt_10_halfLds_dim1_dp_op_CI_CI_unitstride_sbrr_C2R_dirReg
	.p2align	8
	.type	fft_rtc_back_len50_factors_2_5_5_wgs_60_tpt_10_halfLds_dim1_dp_op_CI_CI_unitstride_sbrr_C2R_dirReg,@function
fft_rtc_back_len50_factors_2_5_5_wgs_60_tpt_10_halfLds_dim1_dp_op_CI_CI_unitstride_sbrr_C2R_dirReg: ; @fft_rtc_back_len50_factors_2_5_5_wgs_60_tpt_10_halfLds_dim1_dp_op_CI_CI_unitstride_sbrr_C2R_dirReg
; %bb.0:
	v_mul_u32_u24_e32 v1, 0x199a, v0
	v_lshrrev_b32_e32 v1, 16, v1
	v_mad_u64_u32 v[8:9], s[0:1], s6, 6, v[1:2]
	s_mov_b32 s0, 0xaaaaaaab
	s_load_dwordx4 s[8:11], s[4:5], 0x18
	v_mul_hi_u32 v2, v8, s0
	v_mov_b32_e32 v9, 0
	s_movk_i32 s2, 0x199a
                                        ; implicit-def: $vgpr15
	s_waitcnt lgkmcnt(0)
	v_cmp_gt_u64_e32 vcc, s[10:11], v[8:9]
	v_lshrrev_b32_e32 v2, 2, v2
	v_mul_lo_u32 v2, v2, 6
	v_cmp_le_u64_e64 s[0:1], s[10:11], v[8:9]
                                        ; implicit-def: $vgpr9
	v_sub_u32_e32 v2, v8, v2
	s_and_saveexec_b64 s[6:7], s[0:1]
	s_xor_b64 s[0:1], exec, s[6:7]
; %bb.1:
	v_mul_u32_u24_sdwa v1, v0, s2 dst_sel:DWORD dst_unused:UNUSED_PAD src0_sel:WORD_0 src1_sel:DWORD
	v_mov_b32_e32 v3, 10
	v_mul_lo_u16_sdwa v1, v1, v3 dst_sel:DWORD dst_unused:UNUSED_PAD src0_sel:WORD_1 src1_sel:DWORD
	v_sub_u16_e32 v15, v0, v1
	v_sub_u16_e32 v9, v0, v1
                                        ; implicit-def: $vgpr1
                                        ; implicit-def: $vgpr0
; %bb.2:
	s_or_saveexec_b64 s[10:11], s[0:1]
	s_load_dwordx2 s[6:7], s[4:5], 0x0
	s_load_dwordx2 s[2:3], s[8:9], 0x8
	v_mul_u32_u24_e32 v2, 51, v2
	v_lshlrev_b32_e32 v13, 4, v2
	s_xor_b64 exec, exec, s[10:11]
	s_cbranch_execz .LBB0_6
; %bb.3:
	s_load_dwordx2 s[0:1], s[4:5], 0x10
	s_load_dwordx2 s[8:9], s[4:5], 0x50
	v_mul_lo_u16_e32 v6, 10, v1
	v_sub_u16_e32 v15, v0, v6
	v_lshlrev_b32_e32 v14, 4, v15
	s_waitcnt lgkmcnt(0)
	s_load_dwordx2 s[0:1], s[0:1], 0x8
	s_waitcnt lgkmcnt(0)
	v_mad_u64_u32 v[3:4], s[12:13], s0, v8, 0
	v_mov_b32_e32 v1, v4
	v_mad_u64_u32 v[4:5], s[0:1], s1, v8, v[1:2]
	v_mov_b32_e32 v5, s9
	v_lshlrev_b64 v[0:1], 4, v[3:4]
	v_add3_u32 v3, 0, v13, v14
	v_add_co_u32_e64 v0, s[0:1], s8, v0
	v_addc_co_u32_e64 v1, s[0:1], v5, v1, s[0:1]
	v_add_co_u32_e64 v28, s[0:1], v0, v14
	v_addc_co_u32_e64 v29, s[0:1], 0, v1, s[0:1]
	global_load_dwordx4 v[4:7], v[28:29], off
	global_load_dwordx4 v[9:12], v[28:29], off offset:160
	global_load_dwordx4 v[16:19], v[28:29], off offset:320
	;; [unrolled: 1-line block ×4, first 2 shown]
	v_cmp_eq_u16_e64 s[0:1], 9, v15
	s_waitcnt vmcnt(4)
	ds_write_b128 v3, v[4:7]
	s_waitcnt vmcnt(3)
	ds_write_b128 v3, v[9:12] offset:160
	s_waitcnt vmcnt(2)
	ds_write_b128 v3, v[16:19] offset:320
	;; [unrolled: 2-line block ×4, first 2 shown]
	v_mov_b32_e32 v9, v15
	s_and_saveexec_b64 s[8:9], s[0:1]
	s_cbranch_execz .LBB0_5
; %bb.4:
	global_load_dwordx4 v[4:7], v[0:1], off offset:800
	v_mov_b32_e32 v15, 9
	v_mov_b32_e32 v9, 9
	s_waitcnt vmcnt(0)
	ds_write_b128 v3, v[4:7] offset:656
.LBB0_5:
	s_or_b64 exec, exec, s[8:9]
.LBB0_6:
	s_or_b64 exec, exec, s[10:11]
	v_lshl_add_u32 v11, v2, 4, 0
	v_lshlrev_b32_e32 v14, 4, v9
	v_add_u32_e32 v12, v11, v14
	s_waitcnt lgkmcnt(0)
	; wave barrier
	s_waitcnt lgkmcnt(0)
	v_sub_u32_e32 v16, v11, v14
	ds_read_b64 v[4:5], v12
	ds_read_b64 v[6:7], v16 offset:800
	v_cmp_ne_u16_e64 s[0:1], 0, v15
	s_waitcnt lgkmcnt(0)
	v_add_f64 v[0:1], v[4:5], v[6:7]
	v_add_f64 v[2:3], v[4:5], -v[6:7]
	s_and_saveexec_b64 s[8:9], s[0:1]
	s_xor_b64 s[0:1], exec, s[8:9]
	s_cbranch_execz .LBB0_8
; %bb.7:
	v_mov_b32_e32 v0, 4
	v_lshlrev_b32_sdwa v0, v0, v15 dst_sel:DWORD dst_unused:UNUSED_PAD src0_sel:DWORD src1_sel:WORD_0
	global_load_dwordx4 v[17:20], v0, s[6:7] offset:768
	ds_read_b64 v[0:1], v16 offset:808
	ds_read_b64 v[2:3], v12 offset:8
	v_add_f64 v[21:22], v[4:5], v[6:7]
	v_add_f64 v[23:24], v[4:5], -v[6:7]
	s_waitcnt lgkmcnt(0)
	v_add_f64 v[25:26], v[0:1], v[2:3]
	v_add_f64 v[0:1], v[2:3], -v[0:1]
	s_waitcnt vmcnt(0)
	v_fma_f64 v[2:3], -v[23:24], v[19:20], v[21:22]
	v_fma_f64 v[6:7], v[25:26], v[19:20], -v[0:1]
	v_fma_f64 v[21:22], v[23:24], v[19:20], v[21:22]
	v_fma_f64 v[19:20], v[25:26], v[19:20], v[0:1]
	;; [unrolled: 1-line block ×4, first 2 shown]
	v_fma_f64 v[0:1], -v[25:26], v[17:18], v[21:22]
	v_fma_f64 v[2:3], v[23:24], v[17:18], v[19:20]
	ds_write_b128 v16, v[4:7] offset:800
.LBB0_8:
	s_andn2_saveexec_b64 s[0:1], s[0:1]
	s_cbranch_execz .LBB0_10
; %bb.9:
	ds_read_b128 v[4:7], v11 offset:400
	s_waitcnt lgkmcnt(0)
	v_add_f64 v[4:5], v[4:5], v[4:5]
	v_mul_f64 v[6:7], v[6:7], -2.0
	ds_write_b128 v11, v[4:7] offset:400
.LBB0_10:
	s_or_b64 exec, exec, s[0:1]
	v_mov_b32_e32 v10, 0
	s_add_u32 s0, s6, 0x300
	v_lshlrev_b64 v[4:5], 4, v[9:10]
	s_addc_u32 s1, s7, 0
	v_mov_b32_e32 v6, s1
	v_add_co_u32_e64 v4, s[0:1], s0, v4
	v_addc_co_u32_e64 v5, s[0:1], v6, v5, s[0:1]
	global_load_dwordx4 v[17:20], v[4:5], off offset:160
	ds_write_b128 v12, v[0:3]
	ds_read_b128 v[0:3], v12 offset:160
	ds_read_b128 v[21:24], v16 offset:640
	v_cmp_gt_u16_e64 s[0:1], 5, v15
	s_waitcnt lgkmcnt(0)
	v_add_f64 v[6:7], v[0:1], v[21:22]
	v_add_f64 v[25:26], v[23:24], v[2:3]
	v_add_f64 v[21:22], v[0:1], -v[21:22]
	v_add_f64 v[0:1], v[2:3], -v[23:24]
	s_waitcnt vmcnt(0)
	v_fma_f64 v[2:3], v[21:22], v[19:20], v[6:7]
	v_fma_f64 v[23:24], v[25:26], v[19:20], v[0:1]
	v_fma_f64 v[6:7], -v[21:22], v[19:20], v[6:7]
	v_fma_f64 v[27:28], v[25:26], v[19:20], -v[0:1]
	v_fma_f64 v[0:1], -v[25:26], v[17:18], v[2:3]
	v_fma_f64 v[2:3], v[21:22], v[17:18], v[23:24]
	v_fma_f64 v[19:20], v[25:26], v[17:18], v[6:7]
	;; [unrolled: 1-line block ×3, first 2 shown]
	ds_write_b128 v12, v[0:3] offset:160
	ds_write_b128 v16, v[19:22] offset:640
	s_and_saveexec_b64 s[8:9], s[0:1]
	s_cbranch_execz .LBB0_12
; %bb.11:
	global_load_dwordx4 v[0:3], v[4:5], off offset:320
	ds_read_b128 v[4:7], v12 offset:320
	ds_read_b128 v[17:20], v16 offset:480
	s_waitcnt lgkmcnt(0)
	v_add_f64 v[21:22], v[4:5], v[17:18]
	v_add_f64 v[23:24], v[19:20], v[6:7]
	v_add_f64 v[25:26], v[4:5], -v[17:18]
	v_add_f64 v[4:5], v[6:7], -v[19:20]
	s_waitcnt vmcnt(0)
	v_fma_f64 v[6:7], v[25:26], v[2:3], v[21:22]
	v_fma_f64 v[17:18], v[23:24], v[2:3], v[4:5]
	v_fma_f64 v[19:20], -v[25:26], v[2:3], v[21:22]
	v_fma_f64 v[21:22], v[23:24], v[2:3], -v[4:5]
	v_fma_f64 v[2:3], -v[23:24], v[0:1], v[6:7]
	v_fma_f64 v[4:5], v[25:26], v[0:1], v[17:18]
	v_fma_f64 v[17:18], v[23:24], v[0:1], v[19:20]
	;; [unrolled: 1-line block ×3, first 2 shown]
	ds_write_b128 v12, v[2:5] offset:320
	ds_write_b128 v16, v[17:20] offset:480
.LBB0_12:
	s_or_b64 exec, exec, s[8:9]
	v_add3_u32 v10, 0, v14, v13
	s_waitcnt lgkmcnt(0)
	; wave barrier
	s_waitcnt lgkmcnt(0)
	s_waitcnt lgkmcnt(0)
	; wave barrier
	s_waitcnt lgkmcnt(0)
	ds_read_b128 v[4:7], v10 offset:400
	ds_read_b128 v[15:18], v12
	ds_read_b128 v[19:22], v10 offset:160
	ds_read_b128 v[23:26], v10 offset:560
	;; [unrolled: 1-line block ×3, first 2 shown]
	v_add_u32_e32 v14, v10, v14
	s_waitcnt lgkmcnt(3)
	v_add_f64 v[27:28], v[15:16], -v[4:5]
	v_add_f64 v[29:30], v[17:18], -v[6:7]
	s_waitcnt lgkmcnt(1)
	v_add_f64 v[23:24], v[19:20], -v[23:24]
	v_add_f64 v[25:26], v[21:22], -v[25:26]
	ds_read_b128 v[4:7], v10 offset:720
	s_waitcnt lgkmcnt(0)
	; wave barrier
	s_waitcnt lgkmcnt(0)
	v_fma_f64 v[15:16], v[15:16], 2.0, -v[27:28]
	v_fma_f64 v[17:18], v[17:18], 2.0, -v[29:30]
	;; [unrolled: 1-line block ×4, first 2 shown]
	ds_write_b128 v14, v[27:30] offset:16
	ds_write_b128 v14, v[15:18]
	v_lshlrev_b32_e32 v14, 5, v9
	v_add3_u32 v14, v14, 0, v13
	ds_write_b128 v14, v[19:22] offset:320
	ds_write_b128 v14, v[23:26] offset:336
	s_and_saveexec_b64 s[8:9], s[0:1]
	s_cbranch_execz .LBB0_14
; %bb.13:
	v_add_f64 v[6:7], v[2:3], -v[6:7]
	v_add_f64 v[4:5], v[0:1], -v[4:5]
	v_fma_f64 v[2:3], v[2:3], 2.0, -v[6:7]
	v_fma_f64 v[0:1], v[0:1], 2.0, -v[4:5]
	ds_write_b128 v14, v[0:3] offset:640
	ds_write_b128 v14, v[4:7] offset:656
.LBB0_14:
	s_or_b64 exec, exec, s[8:9]
	v_and_b32_e32 v52, 1, v9
	v_lshlrev_b32_e32 v0, 6, v52
	s_waitcnt lgkmcnt(0)
	; wave barrier
	s_waitcnt lgkmcnt(0)
	global_load_dwordx4 v[2:5], v0, s[6:7]
	global_load_dwordx4 v[14:17], v0, s[6:7] offset:16
	global_load_dwordx4 v[18:21], v0, s[6:7] offset:32
	;; [unrolled: 1-line block ×3, first 2 shown]
	ds_read_b128 v[26:29], v10 offset:320
	ds_read_b128 v[30:33], v10 offset:480
	;; [unrolled: 1-line block ×4, first 2 shown]
	ds_read_b128 v[42:45], v12
	v_lshrrev_b32_e32 v53, 1, v9
	v_lshlrev_b32_e32 v0, 2, v9
	v_mov_b32_e32 v1, 0
	s_mov_b32 s8, 0x134454ff
	s_mov_b32 s9, 0xbfee6f0e
	;; [unrolled: 1-line block ×10, first 2 shown]
	v_mov_b32_e32 v58, s7
	s_waitcnt lgkmcnt(0)
	; wave barrier
	s_waitcnt vmcnt(3) lgkmcnt(0)
	v_mul_f64 v[6:7], v[40:41], v[4:5]
	v_mul_f64 v[4:5], v[38:39], v[4:5]
	s_waitcnt vmcnt(2)
	v_mul_f64 v[46:47], v[28:29], v[16:17]
	v_mul_f64 v[16:17], v[26:27], v[16:17]
	s_waitcnt vmcnt(1)
	;; [unrolled: 3-line block ×3, first 2 shown]
	v_mul_f64 v[50:51], v[36:37], v[24:25]
	v_fma_f64 v[6:7], v[38:39], v[2:3], v[6:7]
	v_fma_f64 v[2:3], v[40:41], v[2:3], -v[4:5]
	v_mul_f64 v[4:5], v[34:35], v[24:25]
	v_fma_f64 v[24:25], v[26:27], v[14:15], v[46:47]
	v_fma_f64 v[14:15], v[28:29], v[14:15], -v[16:17]
	v_fma_f64 v[16:17], v[30:31], v[18:19], v[48:49]
	v_fma_f64 v[26:27], v[34:35], v[22:23], v[50:51]
	v_fma_f64 v[18:19], v[32:33], v[18:19], -v[20:21]
	v_mul_u32_u24_e32 v40, 10, v53
	v_lshlrev_b64 v[38:39], 4, v[0:1]
	v_fma_f64 v[4:5], v[36:37], v[22:23], -v[4:5]
	v_or_b32_e32 v0, v40, v52
	v_add_f64 v[20:21], v[24:25], -v[6:7]
	v_add_f64 v[28:29], v[14:15], -v[2:3]
	;; [unrolled: 1-line block ×3, first 2 shown]
	v_add_f64 v[32:33], v[6:7], v[26:27]
	v_add_f64 v[50:51], v[24:25], v[16:17]
	;; [unrolled: 1-line block ×3, first 2 shown]
	v_add_f64 v[30:31], v[18:19], -v[4:5]
	v_add_f64 v[36:37], v[2:3], v[4:5]
	v_add_f64 v[54:55], v[42:43], v[6:7]
	;; [unrolled: 1-line block ×3, first 2 shown]
	v_add_f64 v[34:35], v[14:15], -v[18:19]
	v_add_f64 v[40:41], v[2:3], -v[4:5]
	;; [unrolled: 1-line block ×6, first 2 shown]
	v_add_f64 v[20:21], v[20:21], v[22:23]
	v_add_f64 v[22:23], v[26:27], -v[16:17]
	v_add_f64 v[28:29], v[28:29], v[30:31]
	v_add_f64 v[30:31], v[4:5], -v[18:19]
	v_fma_f64 v[32:33], v[32:33], -0.5, v[42:43]
	v_fma_f64 v[36:37], v[36:37], -0.5, v[44:45]
	;; [unrolled: 1-line block ×4, first 2 shown]
	v_add_f64 v[24:25], v[54:55], v[24:25]
	v_add_f64 v[14:15], v[56:57], v[14:15]
	;; [unrolled: 1-line block ×4, first 2 shown]
	v_fma_f64 v[2:3], v[34:35], s[16:17], v[32:33]
	v_fma_f64 v[22:23], v[46:47], s[8:9], v[36:37]
	v_fma_f64 v[32:33], v[34:35], s[8:9], v[32:33]
	v_fma_f64 v[36:37], v[46:47], s[16:17], v[36:37]
	v_add_f64 v[16:17], v[24:25], v[16:17]
	v_add_f64 v[14:15], v[14:15], v[18:19]
	v_fma_f64 v[18:19], v[40:41], s[8:9], v[42:43]
	v_fma_f64 v[24:25], v[40:41], s[16:17], v[42:43]
	;; [unrolled: 1-line block ×7, first 2 shown]
	v_add_f64 v[2:3], v[16:17], v[26:27]
	v_fma_f64 v[26:27], v[34:35], s[10:11], v[18:19]
	v_fma_f64 v[36:37], v[48:49], s[10:11], v[36:37]
	;; [unrolled: 1-line block ×5, first 2 shown]
	v_add_f64 v[4:5], v[14:15], v[4:5]
	v_fma_f64 v[16:17], v[28:29], s[14:15], v[22:23]
	v_fma_f64 v[14:15], v[20:21], s[14:15], v[50:51]
	v_fma_f64 v[22:23], v[6:7], s[14:15], v[26:27]
	v_fma_f64 v[18:19], v[20:21], s[14:15], v[32:33]
	v_fma_f64 v[24:25], v[30:31], s[14:15], v[40:41]
	v_fma_f64 v[20:21], v[28:29], s[14:15], v[36:37]
	v_fma_f64 v[26:27], v[6:7], s[14:15], v[34:35]
	v_fma_f64 v[28:29], v[30:31], s[14:15], v[42:43]
	v_lshlrev_b32_e32 v0, 4, v0
	v_add_co_u32_e64 v6, s[0:1], s6, v38
	v_addc_co_u32_e64 v7, s[0:1], v58, v39, s[0:1]
	v_add3_u32 v0, 0, v0, v13
	ds_write_b128 v0, v[2:5]
	ds_write_b128 v0, v[22:25] offset:32
	ds_write_b128 v0, v[14:17] offset:64
	;; [unrolled: 1-line block ×4, first 2 shown]
	s_waitcnt lgkmcnt(0)
	; wave barrier
	s_waitcnt lgkmcnt(0)
	global_load_dwordx4 v[2:5], v[6:7], off offset:128
	global_load_dwordx4 v[13:16], v[6:7], off offset:144
	;; [unrolled: 1-line block ×4, first 2 shown]
	ds_read_b128 v[25:28], v10 offset:160
	ds_read_b128 v[29:32], v10 offset:640
	;; [unrolled: 1-line block ×4, first 2 shown]
	ds_read_b128 v[41:44], v12
	s_waitcnt lgkmcnt(0)
	; wave barrier
	s_waitcnt vmcnt(3) lgkmcnt(0)
	v_mul_f64 v[6:7], v[27:28], v[4:5]
	v_mul_f64 v[4:5], v[25:26], v[4:5]
	s_waitcnt vmcnt(2)
	v_mul_f64 v[45:46], v[35:36], v[15:16]
	v_mul_f64 v[15:16], v[33:34], v[15:16]
	s_waitcnt vmcnt(1)
	;; [unrolled: 3-line block ×3, first 2 shown]
	v_mul_f64 v[49:50], v[39:40], v[23:24]
	v_mul_f64 v[23:24], v[37:38], v[23:24]
	v_fma_f64 v[6:7], v[25:26], v[2:3], v[6:7]
	v_fma_f64 v[2:3], v[27:28], v[2:3], -v[4:5]
	v_fma_f64 v[4:5], v[33:34], v[13:14], v[45:46]
	v_fma_f64 v[12:13], v[35:36], v[13:14], -v[15:16]
	;; [unrolled: 2-line block ×4, first 2 shown]
	v_add_f64 v[22:23], v[41:42], v[6:7]
	v_add_f64 v[24:25], v[43:44], v[2:3]
	v_add_f64 v[34:35], v[4:5], -v[6:7]
	v_add_f64 v[38:39], v[6:7], -v[4:5]
	v_add_f64 v[26:27], v[6:7], v[14:15]
	v_add_f64 v[28:29], v[2:3], v[16:17]
	;; [unrolled: 1-line block ×4, first 2 shown]
	v_add_f64 v[36:37], v[4:5], -v[18:19]
	v_add_f64 v[6:7], v[6:7], -v[14:15]
	v_add_f64 v[49:50], v[12:13], -v[2:3]
	v_add_f64 v[51:52], v[12:13], -v[20:21]
	v_add_f64 v[53:54], v[2:3], -v[12:13]
	v_add_f64 v[55:56], v[2:3], -v[16:17]
	v_add_f64 v[2:3], v[20:21], -v[16:17]
	v_add_f64 v[4:5], v[22:23], v[4:5]
	v_add_f64 v[12:13], v[24:25], v[12:13]
	v_fma_f64 v[22:23], v[26:27], -0.5, v[41:42]
	v_fma_f64 v[24:25], v[28:29], -0.5, v[43:44]
	;; [unrolled: 1-line block ×4, first 2 shown]
	v_add_f64 v[45:46], v[18:19], -v[14:15]
	v_add_f64 v[47:48], v[14:15], -v[18:19]
	;; [unrolled: 1-line block ×3, first 2 shown]
	v_add_f64 v[32:33], v[49:50], v[2:3]
	v_add_f64 v[2:3], v[4:5], v[18:19]
	;; [unrolled: 1-line block ×3, first 2 shown]
	v_fma_f64 v[12:13], v[51:52], s[16:17], v[22:23]
	v_fma_f64 v[18:19], v[51:52], s[8:9], v[22:23]
	;; [unrolled: 1-line block ×8, first 2 shown]
	v_add_f64 v[30:31], v[34:35], v[45:46]
	v_add_f64 v[34:35], v[38:39], v[47:48]
	;; [unrolled: 1-line block ×5, first 2 shown]
	v_fma_f64 v[14:15], v[6:7], s[12:13], v[22:23]
	v_fma_f64 v[16:17], v[55:56], s[12:13], v[18:19]
	;; [unrolled: 1-line block ×16, first 2 shown]
	ds_write_b128 v10, v[2:5]
	ds_write_b128 v10, v[20:23] offset:160
	ds_write_b128 v10, v[12:15] offset:320
	;; [unrolled: 1-line block ×4, first 2 shown]
	s_waitcnt lgkmcnt(0)
	; wave barrier
	s_waitcnt lgkmcnt(0)
	s_and_saveexec_b64 s[0:1], vcc
	s_cbranch_execz .LBB0_16
; %bb.15:
	v_mad_u64_u32 v[6:7], s[0:1], s2, v8, 0
	s_load_dwordx2 s[0:1], s[4:5], 0x58
	v_mov_b32_e32 v10, v1
	v_mov_b32_e32 v0, v7
	v_mad_u64_u32 v[7:8], s[2:3], s3, v8, v[0:1]
	v_lshl_add_u32 v8, v9, 4, v11
	ds_read_b128 v[2:5], v8
	v_lshlrev_b64 v[6:7], 4, v[6:7]
	s_waitcnt lgkmcnt(0)
	v_mov_b32_e32 v0, s1
	v_add_co_u32_e32 v14, vcc, s0, v6
	v_addc_co_u32_e32 v15, vcc, v0, v7, vcc
	v_lshlrev_b64 v[6:7], 4, v[9:10]
	ds_read_b128 v[10:13], v8 offset:160
	v_add_co_u32_e32 v6, vcc, v14, v6
	v_addc_co_u32_e32 v7, vcc, v15, v7, vcc
	v_add_u32_e32 v0, 10, v9
	global_store_dwordx4 v[6:7], v[2:5], off
	s_nop 0
	v_lshlrev_b64 v[2:3], 4, v[0:1]
	v_add_u32_e32 v0, 20, v9
	v_add_co_u32_e32 v2, vcc, v14, v2
	v_addc_co_u32_e32 v3, vcc, v15, v3, vcc
	s_waitcnt lgkmcnt(0)
	global_store_dwordx4 v[2:3], v[10:13], off
	ds_read_b128 v[2:5], v8 offset:320
	ds_read_b128 v[10:13], v8 offset:480
	v_lshlrev_b64 v[6:7], 4, v[0:1]
	v_add_u32_e32 v0, 30, v9
	v_add_co_u32_e32 v6, vcc, v14, v6
	v_addc_co_u32_e32 v7, vcc, v15, v7, vcc
	s_waitcnt lgkmcnt(1)
	global_store_dwordx4 v[6:7], v[2:5], off
	s_nop 0
	v_lshlrev_b64 v[2:3], 4, v[0:1]
	v_add_u32_e32 v0, 40, v9
	v_add_co_u32_e32 v2, vcc, v14, v2
	v_addc_co_u32_e32 v3, vcc, v15, v3, vcc
	s_waitcnt lgkmcnt(0)
	global_store_dwordx4 v[2:3], v[10:13], off
	ds_read_b128 v[2:5], v8 offset:640
	v_lshlrev_b64 v[0:1], 4, v[0:1]
	v_add_co_u32_e32 v0, vcc, v14, v0
	v_addc_co_u32_e32 v1, vcc, v15, v1, vcc
	s_waitcnt lgkmcnt(0)
	global_store_dwordx4 v[0:1], v[2:5], off
.LBB0_16:
	s_endpgm
	.section	.rodata,"a",@progbits
	.p2align	6, 0x0
	.amdhsa_kernel fft_rtc_back_len50_factors_2_5_5_wgs_60_tpt_10_halfLds_dim1_dp_op_CI_CI_unitstride_sbrr_C2R_dirReg
		.amdhsa_group_segment_fixed_size 0
		.amdhsa_private_segment_fixed_size 0
		.amdhsa_kernarg_size 96
		.amdhsa_user_sgpr_count 6
		.amdhsa_user_sgpr_private_segment_buffer 1
		.amdhsa_user_sgpr_dispatch_ptr 0
		.amdhsa_user_sgpr_queue_ptr 0
		.amdhsa_user_sgpr_kernarg_segment_ptr 1
		.amdhsa_user_sgpr_dispatch_id 0
		.amdhsa_user_sgpr_flat_scratch_init 0
		.amdhsa_user_sgpr_private_segment_size 0
		.amdhsa_uses_dynamic_stack 0
		.amdhsa_system_sgpr_private_segment_wavefront_offset 0
		.amdhsa_system_sgpr_workgroup_id_x 1
		.amdhsa_system_sgpr_workgroup_id_y 0
		.amdhsa_system_sgpr_workgroup_id_z 0
		.amdhsa_system_sgpr_workgroup_info 0
		.amdhsa_system_vgpr_workitem_id 0
		.amdhsa_next_free_vgpr 59
		.amdhsa_next_free_sgpr 18
		.amdhsa_reserve_vcc 1
		.amdhsa_reserve_flat_scratch 0
		.amdhsa_float_round_mode_32 0
		.amdhsa_float_round_mode_16_64 0
		.amdhsa_float_denorm_mode_32 3
		.amdhsa_float_denorm_mode_16_64 3
		.amdhsa_dx10_clamp 1
		.amdhsa_ieee_mode 1
		.amdhsa_fp16_overflow 0
		.amdhsa_exception_fp_ieee_invalid_op 0
		.amdhsa_exception_fp_denorm_src 0
		.amdhsa_exception_fp_ieee_div_zero 0
		.amdhsa_exception_fp_ieee_overflow 0
		.amdhsa_exception_fp_ieee_underflow 0
		.amdhsa_exception_fp_ieee_inexact 0
		.amdhsa_exception_int_div_zero 0
	.end_amdhsa_kernel
	.text
.Lfunc_end0:
	.size	fft_rtc_back_len50_factors_2_5_5_wgs_60_tpt_10_halfLds_dim1_dp_op_CI_CI_unitstride_sbrr_C2R_dirReg, .Lfunc_end0-fft_rtc_back_len50_factors_2_5_5_wgs_60_tpt_10_halfLds_dim1_dp_op_CI_CI_unitstride_sbrr_C2R_dirReg
                                        ; -- End function
	.section	.AMDGPU.csdata,"",@progbits
; Kernel info:
; codeLenInByte = 3184
; NumSgprs: 22
; NumVgprs: 59
; ScratchSize: 0
; MemoryBound: 0
; FloatMode: 240
; IeeeMode: 1
; LDSByteSize: 0 bytes/workgroup (compile time only)
; SGPRBlocks: 2
; VGPRBlocks: 14
; NumSGPRsForWavesPerEU: 22
; NumVGPRsForWavesPerEU: 59
; Occupancy: 4
; WaveLimiterHint : 1
; COMPUTE_PGM_RSRC2:SCRATCH_EN: 0
; COMPUTE_PGM_RSRC2:USER_SGPR: 6
; COMPUTE_PGM_RSRC2:TRAP_HANDLER: 0
; COMPUTE_PGM_RSRC2:TGID_X_EN: 1
; COMPUTE_PGM_RSRC2:TGID_Y_EN: 0
; COMPUTE_PGM_RSRC2:TGID_Z_EN: 0
; COMPUTE_PGM_RSRC2:TIDIG_COMP_CNT: 0
	.type	__hip_cuid_88ae85b0298ffb96,@object ; @__hip_cuid_88ae85b0298ffb96
	.section	.bss,"aw",@nobits
	.globl	__hip_cuid_88ae85b0298ffb96
__hip_cuid_88ae85b0298ffb96:
	.byte	0                               ; 0x0
	.size	__hip_cuid_88ae85b0298ffb96, 1

	.ident	"AMD clang version 19.0.0git (https://github.com/RadeonOpenCompute/llvm-project roc-6.4.0 25133 c7fe45cf4b819c5991fe208aaa96edf142730f1d)"
	.section	".note.GNU-stack","",@progbits
	.addrsig
	.addrsig_sym __hip_cuid_88ae85b0298ffb96
	.amdgpu_metadata
---
amdhsa.kernels:
  - .args:
      - .actual_access:  read_only
        .address_space:  global
        .offset:         0
        .size:           8
        .value_kind:     global_buffer
      - .actual_access:  read_only
        .address_space:  global
        .offset:         8
        .size:           8
        .value_kind:     global_buffer
      - .actual_access:  read_only
        .address_space:  global
        .offset:         16
        .size:           8
        .value_kind:     global_buffer
      - .actual_access:  read_only
        .address_space:  global
        .offset:         24
        .size:           8
        .value_kind:     global_buffer
      - .offset:         32
        .size:           8
        .value_kind:     by_value
      - .actual_access:  read_only
        .address_space:  global
        .offset:         40
        .size:           8
        .value_kind:     global_buffer
      - .actual_access:  read_only
        .address_space:  global
        .offset:         48
        .size:           8
        .value_kind:     global_buffer
      - .offset:         56
        .size:           4
        .value_kind:     by_value
      - .actual_access:  read_only
        .address_space:  global
        .offset:         64
        .size:           8
        .value_kind:     global_buffer
      - .actual_access:  read_only
        .address_space:  global
        .offset:         72
        .size:           8
        .value_kind:     global_buffer
      - .actual_access:  read_only
        .address_space:  global
        .offset:         80
        .size:           8
        .value_kind:     global_buffer
      - .actual_access:  write_only
        .address_space:  global
        .offset:         88
        .size:           8
        .value_kind:     global_buffer
    .group_segment_fixed_size: 0
    .kernarg_segment_align: 8
    .kernarg_segment_size: 96
    .language:       OpenCL C
    .language_version:
      - 2
      - 0
    .max_flat_workgroup_size: 60
    .name:           fft_rtc_back_len50_factors_2_5_5_wgs_60_tpt_10_halfLds_dim1_dp_op_CI_CI_unitstride_sbrr_C2R_dirReg
    .private_segment_fixed_size: 0
    .sgpr_count:     22
    .sgpr_spill_count: 0
    .symbol:         fft_rtc_back_len50_factors_2_5_5_wgs_60_tpt_10_halfLds_dim1_dp_op_CI_CI_unitstride_sbrr_C2R_dirReg.kd
    .uniform_work_group_size: 1
    .uses_dynamic_stack: false
    .vgpr_count:     59
    .vgpr_spill_count: 0
    .wavefront_size: 64
amdhsa.target:   amdgcn-amd-amdhsa--gfx906
amdhsa.version:
  - 1
  - 2
...

	.end_amdgpu_metadata
